;; amdgpu-corpus repo=ROCm/rocFFT kind=compiled arch=gfx906 opt=O3
	.text
	.amdgcn_target "amdgcn-amd-amdhsa--gfx906"
	.amdhsa_code_object_version 6
	.protected	bluestein_single_back_len294_dim1_dp_op_CI_CI ; -- Begin function bluestein_single_back_len294_dim1_dp_op_CI_CI
	.globl	bluestein_single_back_len294_dim1_dp_op_CI_CI
	.p2align	8
	.type	bluestein_single_back_len294_dim1_dp_op_CI_CI,@function
bluestein_single_back_len294_dim1_dp_op_CI_CI: ; @bluestein_single_back_len294_dim1_dp_op_CI_CI
; %bb.0:
	v_mul_u32_u24_e32 v1, 0x619, v0
	s_load_dwordx4 s[8:11], s[4:5], 0x28
	v_lshrrev_b32_e32 v1, 16, v1
	v_mad_u64_u32 v[122:123], s[0:1], s6, 3, v[1:2]
	v_mov_b32_e32 v123, 0
	s_waitcnt lgkmcnt(0)
	v_cmp_gt_u64_e32 vcc, s[8:9], v[122:123]
	s_and_saveexec_b64 s[0:1], vcc
	s_cbranch_execz .LBB0_15
; %bb.1:
	s_load_dwordx4 s[0:3], s[4:5], 0x18
	v_mul_lo_u16_e32 v1, 42, v1
	v_sub_u16_e32 v124, v0, v1
	v_lshlrev_b32_e32 v74, 4, v124
	s_waitcnt lgkmcnt(0)
	s_load_dwordx4 s[12:15], s[0:1], 0x0
	s_waitcnt lgkmcnt(0)
	v_mad_u64_u32 v[0:1], s[0:1], s14, v122, 0
	v_mad_u64_u32 v[2:3], s[0:1], s12, v124, 0
	;; [unrolled: 1-line block ×3, first 2 shown]
	s_load_dwordx2 s[14:15], s[4:5], 0x0
	v_mad_u64_u32 v[5:6], s[0:1], s13, v124, v[3:4]
	v_mov_b32_e32 v1, v4
	v_lshlrev_b64 v[0:1], 4, v[0:1]
	v_mov_b32_e32 v6, s11
	v_mov_b32_e32 v3, v5
	v_add_co_u32_e32 v4, vcc, s10, v0
	v_addc_co_u32_e32 v5, vcc, v6, v1, vcc
	v_lshlrev_b64 v[0:1], 4, v[2:3]
	s_mul_i32 s0, s13, 49
	s_mul_hi_u32 s1, s12, 49
	v_add_co_u32_e32 v0, vcc, v4, v0
	s_add_i32 s1, s1, s0
	s_mul_i32 s0, s12, 49
	v_addc_co_u32_e32 v1, vcc, v5, v1, vcc
	s_lshl_b64 s[16:17], s[0:1], 4
	global_load_dwordx4 v[26:29], v[0:1], off
	v_mov_b32_e32 v8, s17
	v_add_co_u32_e32 v0, vcc, s16, v0
	v_addc_co_u32_e32 v1, vcc, v1, v8, vcc
	v_add_co_u32_e32 v2, vcc, s16, v0
	v_addc_co_u32_e32 v3, vcc, v1, v8, vcc
	v_add_co_u32_e32 v4, vcc, s16, v2
	s_waitcnt lgkmcnt(0)
	global_load_dwordx4 v[20:23], v74, s[14:15]
	global_load_dwordx4 v[16:19], v74, s[14:15] offset:784
	v_addc_co_u32_e32 v5, vcc, v3, v8, vcc
	global_load_dwordx4 v[30:33], v[0:1], off
	global_load_dwordx4 v[34:37], v[2:3], off
	v_add_co_u32_e32 v6, vcc, s16, v4
	global_load_dwordx4 v[12:15], v74, s[14:15] offset:1568
	global_load_dwordx4 v[0:3], v74, s[14:15] offset:2352
	v_addc_co_u32_e32 v7, vcc, v5, v8, vcc
	global_load_dwordx4 v[38:41], v[4:5], off
	global_load_dwordx4 v[42:45], v[6:7], off
	v_add_co_u32_e32 v24, vcc, s16, v6
	v_addc_co_u32_e32 v25, vcc, v7, v8, vcc
	global_load_dwordx4 v[4:7], v74, s[14:15] offset:3136
	global_load_dwordx4 v[8:11], v74, s[14:15] offset:3920
	global_load_dwordx4 v[46:49], v[24:25], off
	s_mov_b32 s0, 0xaaaaaaab
	v_mul_hi_u32 v50, v122, s0
	v_mov_b32_e32 v51, s15
	v_add_co_u32_e64 v120, s[0:1], s14, v74
	v_lshrrev_b32_e32 v50, 1, v50
	v_lshl_add_u32 v50, v50, 1, v50
	v_sub_u32_e32 v50, v122, v50
	v_addc_co_u32_e64 v121, vcc, 0, v51, s[0:1]
	v_mul_u32_u24_e32 v75, 0x126, v50
	s_load_dwordx2 s[6:7], s[4:5], 0x38
	s_load_dwordx4 s[8:11], s[2:3], 0x0
	v_lshlrev_b32_e32 v125, 4, v75
	v_add_u32_e32 v123, v74, v125
	v_cmp_gt_u16_e32 vcc, 7, v124
	s_waitcnt vmcnt(10)
	v_mul_f64 v[50:51], v[28:29], v[22:23]
	v_mul_f64 v[52:53], v[26:27], v[22:23]
	s_waitcnt vmcnt(8)
	v_mul_f64 v[54:55], v[32:33], v[18:19]
	v_mul_f64 v[56:57], v[30:31], v[18:19]
	;; [unrolled: 3-line block ×3, first 2 shown]
	v_fma_f64 v[26:27], v[26:27], v[20:21], v[50:51]
	s_waitcnt vmcnt(4)
	v_mul_f64 v[62:63], v[40:41], v[2:3]
	v_mul_f64 v[64:65], v[38:39], v[2:3]
	v_fma_f64 v[28:29], v[28:29], v[20:21], -v[52:53]
	v_fma_f64 v[30:31], v[30:31], v[16:17], v[54:55]
	s_waitcnt vmcnt(2)
	v_mul_f64 v[66:67], v[44:45], v[6:7]
	v_mul_f64 v[68:69], v[42:43], v[6:7]
	s_waitcnt vmcnt(0)
	v_mul_f64 v[70:71], v[48:49], v[10:11]
	v_mul_f64 v[72:73], v[46:47], v[10:11]
	v_fma_f64 v[32:33], v[32:33], v[16:17], -v[56:57]
	v_fma_f64 v[34:35], v[34:35], v[12:13], v[58:59]
	v_fma_f64 v[36:37], v[36:37], v[12:13], -v[60:61]
	v_fma_f64 v[38:39], v[38:39], v[0:1], v[62:63]
	;; [unrolled: 2-line block ×4, first 2 shown]
	v_fma_f64 v[48:49], v[48:49], v[8:9], -v[72:73]
	ds_write_b128 v123, v[26:29]
	ds_write_b128 v123, v[30:33] offset:784
	ds_write_b128 v123, v[34:37] offset:1568
	;; [unrolled: 1-line block ×5, first 2 shown]
	s_and_saveexec_b64 s[18:19], vcc
	s_cbranch_execz .LBB0_3
; %bb.2:
	v_mov_b32_e32 v26, 0xfffff350
	v_mad_u64_u32 v[28:29], s[2:3], s12, v26, v[24:25]
	s_mul_i32 s2, s13, 0xfffff350
	s_sub_i32 s2, s2, s12
	v_add_u32_e32 v29, s2, v29
	v_mov_b32_e32 v66, s17
	v_add_co_u32_e64 v40, s[2:3], s16, v28
	v_addc_co_u32_e64 v41, s[2:3], v29, v66, s[2:3]
	v_add_co_u32_e64 v44, s[2:3], s16, v40
	v_addc_co_u32_e64 v45, s[2:3], v41, v66, s[2:3]
	;; [unrolled: 2-line block ×4, first 2 shown]
	global_load_dwordx4 v[24:27], v[28:29], off
	v_add_co_u32_e64 v72, s[2:3], s16, v64
	global_load_dwordx4 v[28:31], v[40:41], off
	global_load_dwordx4 v[32:35], v[120:121], off offset:672
	global_load_dwordx4 v[36:39], v[120:121], off offset:1456
	v_addc_co_u32_e64 v73, s[2:3], v65, v66, s[2:3]
	global_load_dwordx4 v[40:43], v[44:45], off
	s_movk_i32 s2, 0x1000
	global_load_dwordx4 v[44:47], v[56:57], off
	global_load_dwordx4 v[48:51], v[120:121], off offset:2240
	global_load_dwordx4 v[52:55], v[120:121], off offset:3024
	v_add_co_u32_e64 v74, s[2:3], s2, v120
	global_load_dwordx4 v[56:59], v[64:65], off
	global_load_dwordx4 v[60:63], v[120:121], off offset:3808
	v_addc_co_u32_e64 v75, s[2:3], 0, v121, s[2:3]
	global_load_dwordx4 v[64:67], v[74:75], off offset:496
	global_load_dwordx4 v[68:71], v[72:73], off
	s_waitcnt vmcnt(9)
	v_mul_f64 v[72:73], v[26:27], v[34:35]
	v_mul_f64 v[34:35], v[24:25], v[34:35]
	s_waitcnt vmcnt(8)
	v_mul_f64 v[74:75], v[30:31], v[38:39]
	v_mul_f64 v[38:39], v[28:29], v[38:39]
	;; [unrolled: 3-line block ×5, first 2 shown]
	v_fma_f64 v[24:25], v[24:25], v[32:33], v[72:73]
	s_waitcnt vmcnt(0)
	v_mul_f64 v[82:83], v[70:71], v[66:67]
	v_mul_f64 v[66:67], v[68:69], v[66:67]
	v_fma_f64 v[26:27], v[26:27], v[32:33], -v[34:35]
	v_fma_f64 v[28:29], v[28:29], v[36:37], v[74:75]
	v_fma_f64 v[30:31], v[30:31], v[36:37], -v[38:39]
	v_fma_f64 v[32:33], v[40:41], v[48:49], v[76:77]
	;; [unrolled: 2-line block ×5, first 2 shown]
	v_fma_f64 v[46:47], v[70:71], v[64:65], -v[66:67]
	ds_write_b128 v123, v[24:27] offset:672
	ds_write_b128 v123, v[28:31] offset:1456
	;; [unrolled: 1-line block ×6, first 2 shown]
.LBB0_3:
	s_or_b64 exec, exec, s[18:19]
	s_waitcnt lgkmcnt(0)
	s_barrier
	ds_read_b128 v[68:71], v123
	ds_read_b128 v[56:59], v123 offset:784
	ds_read_b128 v[60:63], v123 offset:1568
	;; [unrolled: 1-line block ×5, first 2 shown]
	s_load_dwordx2 s[4:5], s[4:5], 0x8
                                        ; implicit-def: $vgpr28_vgpr29
                                        ; implicit-def: $vgpr24_vgpr25
                                        ; implicit-def: $vgpr36_vgpr37
                                        ; implicit-def: $vgpr32_vgpr33
                                        ; implicit-def: $vgpr40_vgpr41
                                        ; implicit-def: $vgpr44_vgpr45
	s_and_saveexec_b64 s[2:3], vcc
	s_cbranch_execz .LBB0_5
; %bb.4:
	ds_read_b128 v[28:31], v123 offset:672
	ds_read_b128 v[24:27], v123 offset:1456
	;; [unrolled: 1-line block ×6, first 2 shown]
.LBB0_5:
	s_or_b64 exec, exec, s[2:3]
	s_waitcnt lgkmcnt(0)
	v_add_f64 v[72:73], v[60:61], v[52:53]
	v_add_f64 v[76:77], v[66:67], v[50:51]
	;; [unrolled: 1-line block ×4, first 2 shown]
	v_add_co_u32_e64 v98, s[2:3], 42, v124
	s_mov_b32 s2, 0xe8584caa
	s_mov_b32 s3, 0x3febb67a
	v_fma_f64 v[68:69], v[72:73], -0.5, v[68:69]
	v_add_f64 v[72:73], v[64:65], -v[48:49]
	v_fma_f64 v[76:77], v[76:77], -0.5, v[58:59]
	v_add_f64 v[80:81], v[62:63], -v[54:55]
	v_add_f64 v[82:83], v[66:67], -v[50:51]
	v_fma_f64 v[74:75], v[74:75], -0.5, v[56:57]
	v_add_f64 v[56:57], v[56:57], v[64:65]
	s_mov_b32 s13, 0xbfebb67a
	s_mov_b32 s12, s2
	v_add_f64 v[84:85], v[62:63], v[54:55]
	v_fma_f64 v[64:65], v[72:73], s[2:3], v[76:77]
	v_fma_f64 v[86:87], v[80:81], s[2:3], v[68:69]
	;; [unrolled: 1-line block ×6, first 2 shown]
	v_add_f64 v[48:49], v[56:57], v[48:49]
	v_add_f64 v[78:79], v[78:79], v[52:53]
	v_mul_f64 v[56:57], v[64:65], -0.5
	v_add_f64 v[62:63], v[70:71], v[62:63]
	v_fma_f64 v[70:71], v[84:85], -0.5, v[70:71]
	v_mul_f64 v[72:73], v[88:89], s[2:3]
	v_mul_f64 v[74:75], v[90:91], -0.5
	v_add_f64 v[58:59], v[58:59], v[66:67]
	v_add_f64 v[52:53], v[60:61], -v[52:53]
	v_mul_f64 v[60:61], v[68:69], s[12:13]
	v_fma_f64 v[56:57], v[90:91], s[12:13], v[56:57]
	v_add_f64 v[90:91], v[32:33], v[44:45]
	v_add_f64 v[92:93], v[34:35], v[46:47]
	;; [unrolled: 1-line block ×3, first 2 shown]
	v_fma_f64 v[76:77], v[68:69], 0.5, v[72:73]
	v_fma_f64 v[82:83], v[64:65], s[2:3], v[74:75]
	v_add_f64 v[50:51], v[58:59], v[50:51]
	v_fma_f64 v[58:59], v[52:53], s[12:13], v[70:71]
	v_fma_f64 v[84:85], v[88:89], 0.5, v[60:61]
	v_add_f64 v[60:61], v[78:79], v[48:49]
	v_add_f64 v[88:89], v[36:37], v[40:41]
	v_add_f64 v[73:74], v[78:79], -v[48:49]
	v_add_f64 v[48:49], v[28:29], v[36:37]
	v_fma_f64 v[90:91], v[90:91], -0.5, v[24:25]
	v_fma_f64 v[92:93], v[92:93], -0.5, v[26:27]
	v_add_f64 v[94:95], v[32:33], -v[44:45]
	v_add_f64 v[96:97], v[34:35], -v[46:47]
	v_fma_f64 v[52:53], v[52:53], s[2:3], v[70:71]
	v_add_f64 v[64:65], v[86:87], v[76:77]
	v_add_f64 v[69:70], v[80:81], v[82:83]
	v_add_f64 v[62:63], v[54:55], v[50:51]
	v_add_f64 v[66:67], v[58:59], v[84:85]
	v_add_f64 v[77:78], v[86:87], -v[76:77]
	v_fma_f64 v[86:87], v[88:89], -0.5, v[28:29]
	v_add_f64 v[88:89], v[38:39], -v[42:43]
	v_add_f64 v[81:82], v[80:81], -v[82:83]
	;; [unrolled: 1-line block ×3, first 2 shown]
	v_add_f64 v[50:51], v[38:39], v[42:43]
	v_add_f64 v[79:80], v[58:59], -v[84:85]
	v_add_f64 v[28:29], v[48:49], v[40:41]
	v_fma_f64 v[48:49], v[94:95], s[12:13], v[92:93]
	v_fma_f64 v[58:59], v[96:97], s[12:13], v[90:91]
	;; [unrolled: 1-line block ×5, first 2 shown]
	v_fma_f64 v[50:51], v[50:51], -0.5, v[30:31]
	v_add_f64 v[36:37], v[36:37], -v[40:41]
	v_fma_f64 v[40:41], v[88:89], s[12:13], v[86:87]
	v_add_f64 v[30:31], v[30:31], v[38:39]
	v_mul_f64 v[38:39], v[48:49], s[2:3]
	v_mul_f64 v[85:86], v[58:59], -0.5
	v_mul_f64 v[87:88], v[83:84], s[12:13]
	v_mul_f64 v[92:93], v[90:91], -0.5
	v_add_f64 v[24:25], v[24:25], v[32:33]
	v_add_f64 v[32:33], v[26:27], v[34:35]
	v_fma_f64 v[94:95], v[36:37], s[12:13], v[50:51]
	v_fma_f64 v[96:97], v[36:37], s[2:3], v[50:51]
	v_fma_f64 v[50:51], v[83:84], 0.5, v[38:39]
	v_fma_f64 v[85:86], v[90:91], s[2:3], v[85:86]
	v_fma_f64 v[87:88], v[48:49], 0.5, v[87:88]
	v_fma_f64 v[58:59], v[58:59], s[12:13], v[92:93]
	v_add_f64 v[24:25], v[24:25], v[44:45]
	v_add_f64 v[26:27], v[30:31], v[42:43]
	;; [unrolled: 1-line block ×4, first 2 shown]
	v_add_f64 v[83:84], v[52:53], -v[56:57]
	v_add_f64 v[32:33], v[54:55], v[50:51]
	v_add_f64 v[36:37], v[40:41], v[85:86]
	;; [unrolled: 1-line block ×4, first 2 shown]
	v_add_f64 v[48:49], v[28:29], -v[24:25]
	v_add_f64 v[52:53], v[54:55], -v[50:51]
	;; [unrolled: 1-line block ×6, first 2 shown]
	v_mul_u32_u24_e32 v68, 6, v124
	v_lshl_add_u32 v128, v68, 4, v125
	v_mul_u32_u24_e32 v126, 6, v98
	s_barrier
	ds_write_b128 v128, v[60:63]
	ds_write_b128 v128, v[64:67] offset:16
	ds_write_b128 v128, v[69:72] offset:32
	ds_write_b128 v128, v[73:76] offset:48
	ds_write_b128 v128, v[77:80] offset:64
	ds_write_b128 v128, v[81:84] offset:80
	s_and_saveexec_b64 s[2:3], vcc
	s_cbranch_execz .LBB0_7
; %bb.6:
	v_add_f64 v[26:27], v[26:27], v[30:31]
	v_add_f64 v[24:25], v[28:29], v[24:25]
	v_lshl_add_u32 v28, v126, 4, v125
	ds_write_b128 v28, v[32:35] offset:16
	ds_write_b128 v28, v[36:39] offset:32
	;; [unrolled: 1-line block ×4, first 2 shown]
	ds_write_b128 v28, v[24:27]
	ds_write_b128 v28, v[56:59] offset:80
.LBB0_7:
	s_or_b64 exec, exec, s[2:3]
	s_movk_i32 s2, 0xab
	v_mul_lo_u16_sdwa v24, v124, s2 dst_sel:DWORD dst_unused:UNUSED_PAD src0_sel:BYTE_0 src1_sel:DWORD
	v_lshrrev_b16_e32 v97, 10, v24
	v_mul_lo_u16_e32 v24, 6, v97
	v_sub_u16_e32 v98, v124, v24
	v_mov_b32_e32 v24, 6
	v_mul_u32_u24_sdwa v24, v98, v24 dst_sel:DWORD dst_unused:UNUSED_PAD src0_sel:BYTE_0 src1_sel:DWORD
	v_lshlrev_b32_e32 v69, 4, v24
	s_waitcnt lgkmcnt(0)
	s_barrier
	global_load_dwordx4 v[44:47], v69, s[4:5]
	global_load_dwordx4 v[40:43], v69, s[4:5] offset:16
	global_load_dwordx4 v[28:31], v69, s[4:5] offset:32
	;; [unrolled: 1-line block ×5, first 2 shown]
	ds_read_b128 v[69:72], v123
	ds_read_b128 v[73:76], v123 offset:672
	ds_read_b128 v[77:80], v123 offset:1344
	;; [unrolled: 1-line block ×6, first 2 shown]
	v_mul_u32_u24_e32 v97, 42, v97
	v_add_u32_sdwa v97, v97, v98 dst_sel:DWORD dst_unused:UNUSED_PAD src0_sel:DWORD src1_sel:BYTE_0
	v_lshl_add_u32 v127, v97, 4, v125
	s_mov_b32 s12, 0x37e14327
	s_mov_b32 s2, 0x36b3c0b5
	;; [unrolled: 1-line block ×20, first 2 shown]
	s_waitcnt vmcnt(0) lgkmcnt(0)
	s_barrier
	v_mul_f64 v[97:98], v[75:76], v[46:47]
	v_mul_f64 v[99:100], v[73:74], v[46:47]
	;; [unrolled: 1-line block ×12, first 2 shown]
	v_fma_f64 v[73:74], v[73:74], v[44:45], -v[97:98]
	v_fma_f64 v[75:76], v[75:76], v[44:45], v[99:100]
	v_fma_f64 v[77:78], v[77:78], v[40:41], -v[101:102]
	v_fma_f64 v[79:80], v[79:80], v[40:41], v[103:104]
	;; [unrolled: 2-line block ×6, first 2 shown]
	v_add_f64 v[97:98], v[73:74], v[93:94]
	v_add_f64 v[99:100], v[75:76], v[95:96]
	v_add_f64 v[73:74], v[73:74], -v[93:94]
	v_add_f64 v[75:76], v[75:76], -v[95:96]
	v_add_f64 v[93:94], v[77:78], v[89:90]
	v_add_f64 v[95:96], v[79:80], v[91:92]
	v_add_f64 v[77:78], v[77:78], -v[89:90]
	v_add_f64 v[79:80], v[79:80], -v[91:92]
	;; [unrolled: 4-line block ×4, first 2 shown]
	v_add_f64 v[97:98], v[97:98], -v[89:90]
	v_add_f64 v[99:100], v[99:100], -v[91:92]
	;; [unrolled: 1-line block ×4, first 2 shown]
	v_add_f64 v[105:106], v[81:82], v[77:78]
	v_add_f64 v[107:108], v[83:84], v[79:80]
	v_add_f64 v[109:110], v[81:82], -v[77:78]
	v_add_f64 v[111:112], v[83:84], -v[79:80]
	v_add_f64 v[85:86], v[89:90], v[85:86]
	v_add_f64 v[87:88], v[91:92], v[87:88]
	v_add_f64 v[77:78], v[77:78], -v[73:74]
	v_add_f64 v[79:80], v[79:80], -v[75:76]
	;; [unrolled: 1-line block ×4, first 2 shown]
	v_add_f64 v[73:74], v[105:106], v[73:74]
	v_add_f64 v[75:76], v[107:108], v[75:76]
	v_mul_f64 v[89:90], v[97:98], s[12:13]
	v_mul_f64 v[91:92], v[99:100], s[12:13]
	;; [unrolled: 1-line block ×6, first 2 shown]
	v_add_f64 v[69:70], v[69:70], v[85:86]
	v_add_f64 v[71:72], v[71:72], v[87:88]
	v_mul_f64 v[109:110], v[77:78], s[16:17]
	v_mul_f64 v[111:112], v[79:80], s[16:17]
	v_fma_f64 v[93:94], v[93:94], s[2:3], v[89:90]
	v_fma_f64 v[95:96], v[95:96], s[2:3], v[91:92]
	v_fma_f64 v[97:98], v[101:102], s[22:23], -v[97:98]
	v_fma_f64 v[99:100], v[103:104], s[22:23], -v[99:100]
	;; [unrolled: 1-line block ×4, first 2 shown]
	v_fma_f64 v[101:102], v[81:82], s[26:27], v[105:106]
	v_fma_f64 v[103:104], v[83:84], s[26:27], v[107:108]
	;; [unrolled: 1-line block ×4, first 2 shown]
	v_fma_f64 v[81:82], v[81:82], s[28:29], -v[109:110]
	v_fma_f64 v[83:84], v[83:84], s[28:29], -v[111:112]
	;; [unrolled: 1-line block ×4, first 2 shown]
	v_fma_f64 v[101:102], v[73:74], s[30:31], v[101:102]
	v_fma_f64 v[103:104], v[75:76], s[30:31], v[103:104]
	v_add_f64 v[93:94], v[93:94], v[85:86]
	v_add_f64 v[95:96], v[95:96], v[87:88]
	v_fma_f64 v[109:110], v[73:74], s[30:31], v[81:82]
	v_fma_f64 v[111:112], v[75:76], s[30:31], v[83:84]
	v_add_f64 v[89:90], v[89:90], v[85:86]
	v_add_f64 v[91:92], v[91:92], v[87:88]
	;; [unrolled: 4-line block ×3, first 2 shown]
	v_add_f64 v[73:74], v[103:104], v[93:94]
	v_add_f64 v[75:76], v[95:96], -v[101:102]
	v_add_f64 v[77:78], v[111:112], v[89:90]
	v_add_f64 v[79:80], v[91:92], -v[109:110]
	v_add_f64 v[89:90], v[89:90], -v[111:112]
	v_add_f64 v[91:92], v[109:110], v[91:92]
	v_add_f64 v[81:82], v[85:86], -v[107:108]
	v_add_f64 v[83:84], v[105:106], v[87:88]
	v_add_f64 v[85:86], v[107:108], v[85:86]
	v_add_f64 v[87:88], v[87:88], -v[105:106]
	v_add_f64 v[93:94], v[93:94], -v[103:104]
	v_add_f64 v[95:96], v[101:102], v[95:96]
	ds_write_b128 v127, v[69:72]
	ds_write_b128 v127, v[73:76] offset:96
	ds_write_b128 v127, v[77:80] offset:192
	;; [unrolled: 1-line block ×6, first 2 shown]
	v_lshlrev_b32_e32 v92, 4, v68
	s_waitcnt lgkmcnt(0)
	s_barrier
	global_load_dwordx4 v[80:83], v92, s[4:5] offset:576
	global_load_dwordx4 v[76:79], v92, s[4:5] offset:592
	;; [unrolled: 1-line block ×6, first 2 shown]
	ds_read_b128 v[93:96], v123
	ds_read_b128 v[97:100], v123 offset:672
	ds_read_b128 v[101:104], v123 offset:1344
	;; [unrolled: 1-line block ×6, first 2 shown]
	v_mov_b32_e32 v92, s15
	s_movk_i32 s4, 0x1000
	v_addc_co_u32_e64 v119, s[0:1], 0, v92, s[0:1]
	s_movk_i32 s5, 0x1260
	s_waitcnt vmcnt(5) lgkmcnt(5)
	v_mul_f64 v[117:118], v[99:100], v[82:83]
	v_mul_f64 v[133:134], v[97:98], v[82:83]
	s_waitcnt vmcnt(4) lgkmcnt(4)
	v_mul_f64 v[135:136], v[103:104], v[78:79]
	v_mul_f64 v[137:138], v[101:102], v[78:79]
	;; [unrolled: 3-line block ×3, first 2 shown]
	s_waitcnt vmcnt(0)
	v_mul_f64 v[151:152], v[115:116], v[90:91]
	v_mul_f64 v[153:154], v[113:114], v[90:91]
	;; [unrolled: 1-line block ×6, first 2 shown]
	v_fma_f64 v[97:98], v[97:98], v[80:81], -v[117:118]
	v_fma_f64 v[99:100], v[99:100], v[80:81], v[133:134]
	v_fma_f64 v[101:102], v[101:102], v[76:77], -v[135:136]
	v_fma_f64 v[103:104], v[103:104], v[76:77], v[137:138]
	v_fma_f64 v[117:118], v[129:130], v[84:85], -v[147:148]
	v_fma_f64 v[129:130], v[131:132], v[84:85], v[149:150]
	v_fma_f64 v[113:114], v[113:114], v[88:89], -v[151:152]
	v_fma_f64 v[115:116], v[115:116], v[88:89], v[153:154]
	v_fma_f64 v[105:106], v[105:106], v[72:73], -v[139:140]
	v_fma_f64 v[107:108], v[107:108], v[72:73], v[141:142]
	v_fma_f64 v[109:110], v[109:110], v[68:69], -v[143:144]
	v_fma_f64 v[111:112], v[111:112], v[68:69], v[145:146]
	v_add_f64 v[131:132], v[97:98], v[117:118]
	v_add_f64 v[133:134], v[99:100], v[129:130]
	v_add_f64 v[97:98], v[97:98], -v[117:118]
	v_add_f64 v[99:100], v[99:100], -v[129:130]
	v_add_f64 v[117:118], v[101:102], v[113:114]
	v_add_f64 v[129:130], v[103:104], v[115:116]
	v_add_f64 v[101:102], v[101:102], -v[113:114]
	v_add_f64 v[103:104], v[103:104], -v[115:116]
	;; [unrolled: 4-line block ×4, first 2 shown]
	v_add_f64 v[131:132], v[131:132], -v[113:114]
	v_add_f64 v[133:134], v[133:134], -v[115:116]
	;; [unrolled: 1-line block ×4, first 2 shown]
	v_add_f64 v[139:140], v[105:106], v[101:102]
	v_add_f64 v[141:142], v[107:108], v[103:104]
	v_add_f64 v[143:144], v[105:106], -v[101:102]
	v_add_f64 v[145:146], v[107:108], -v[103:104]
	v_add_f64 v[109:110], v[113:114], v[109:110]
	v_add_f64 v[111:112], v[115:116], v[111:112]
	v_add_f64 v[101:102], v[101:102], -v[97:98]
	v_add_f64 v[103:104], v[103:104], -v[99:100]
	;; [unrolled: 1-line block ×4, first 2 shown]
	v_add_f64 v[113:114], v[139:140], v[97:98]
	v_add_f64 v[115:116], v[141:142], v[99:100]
	v_mul_f64 v[131:132], v[131:132], s[12:13]
	v_mul_f64 v[133:134], v[133:134], s[12:13]
	;; [unrolled: 1-line block ×6, first 2 shown]
	v_add_f64 v[97:98], v[93:94], v[109:110]
	v_add_f64 v[99:100], v[95:96], v[111:112]
	v_mul_f64 v[147:148], v[101:102], s[16:17]
	v_mul_f64 v[149:150], v[103:104], s[16:17]
	v_fma_f64 v[93:94], v[117:118], s[2:3], v[131:132]
	v_fma_f64 v[95:96], v[129:130], s[2:3], v[133:134]
	v_fma_f64 v[117:118], v[135:136], s[22:23], -v[139:140]
	v_fma_f64 v[129:130], v[137:138], s[22:23], -v[141:142]
	;; [unrolled: 1-line block ×4, first 2 shown]
	v_fma_f64 v[135:136], v[105:106], s[26:27], v[143:144]
	v_fma_f64 v[137:138], v[107:108], s[26:27], v[145:146]
	;; [unrolled: 1-line block ×4, first 2 shown]
	v_fma_f64 v[105:106], v[105:106], s[28:29], -v[147:148]
	v_fma_f64 v[107:108], v[107:108], s[28:29], -v[149:150]
	;; [unrolled: 1-line block ×4, first 2 shown]
	v_fma_f64 v[135:136], v[113:114], s[30:31], v[135:136]
	v_fma_f64 v[137:138], v[115:116], s[30:31], v[137:138]
	v_add_f64 v[93:94], v[93:94], v[109:110]
	v_add_f64 v[95:96], v[95:96], v[111:112]
	v_fma_f64 v[143:144], v[113:114], s[30:31], v[105:106]
	v_fma_f64 v[145:146], v[115:116], s[30:31], v[107:108]
	v_add_f64 v[131:132], v[131:132], v[109:110]
	v_add_f64 v[133:134], v[133:134], v[111:112]
	;; [unrolled: 4-line block ×3, first 2 shown]
	v_add_f64 v[101:102], v[137:138], v[93:94]
	v_add_f64 v[103:104], v[95:96], -v[135:136]
	v_add_f64 v[105:106], v[145:146], v[131:132]
	v_add_f64 v[107:108], v[133:134], -v[143:144]
	v_add_f64 v[129:130], v[131:132], -v[145:146]
	v_add_f64 v[131:132], v[143:144], v[133:134]
	v_add_f64 v[109:110], v[113:114], -v[141:142]
	v_add_f64 v[111:112], v[139:140], v[115:116]
	v_add_f64 v[113:114], v[141:142], v[113:114]
	v_add_f64 v[115:116], v[115:116], -v[139:140]
	v_add_f64 v[92:93], v[93:94], -v[137:138]
	v_add_f64 v[94:95], v[135:136], v[95:96]
	v_add_co_u32_e64 v117, s[0:1], s4, v120
	v_addc_co_u32_e64 v118, s[0:1], 0, v119, s[0:1]
	ds_write_b128 v123, v[97:100]
	ds_write_b128 v123, v[101:104] offset:672
	ds_write_b128 v123, v[105:108] offset:1344
	;; [unrolled: 1-line block ×6, first 2 shown]
	s_waitcnt lgkmcnt(0)
	s_barrier
	global_load_dwordx4 v[98:101], v[117:118], off offset:608
	v_add_co_u32_e64 v96, s[0:1], s5, v120
	v_addc_co_u32_e64 v97, s[0:1], 0, v119, s[0:1]
	global_load_dwordx4 v[102:105], v[96:97], off offset:784
	global_load_dwordx4 v[106:109], v[96:97], off offset:1568
	;; [unrolled: 1-line block ×5, first 2 shown]
	ds_read_b128 v[133:136], v123
	ds_read_b128 v[137:140], v123 offset:784
	ds_read_b128 v[141:144], v123 offset:1568
	;; [unrolled: 1-line block ×5, first 2 shown]
	s_waitcnt vmcnt(5) lgkmcnt(5)
	v_mul_f64 v[118:119], v[135:136], v[100:101]
	v_mul_f64 v[100:101], v[133:134], v[100:101]
	s_waitcnt vmcnt(4) lgkmcnt(4)
	v_mul_f64 v[157:158], v[139:140], v[104:105]
	v_mul_f64 v[104:105], v[137:138], v[104:105]
	;; [unrolled: 3-line block ×6, first 2 shown]
	v_fma_f64 v[116:117], v[133:134], v[98:99], -v[118:119]
	v_fma_f64 v[118:119], v[135:136], v[98:99], v[100:101]
	v_fma_f64 v[98:99], v[137:138], v[102:103], -v[157:158]
	v_fma_f64 v[100:101], v[139:140], v[102:103], v[104:105]
	;; [unrolled: 2-line block ×6, first 2 shown]
	ds_write_b128 v123, v[116:119]
	ds_write_b128 v123, v[98:101] offset:784
	ds_write_b128 v123, v[102:105] offset:1568
	;; [unrolled: 1-line block ×5, first 2 shown]
	s_and_saveexec_b64 s[2:3], vcc
	s_cbranch_execz .LBB0_9
; %bb.8:
	global_load_dwordx4 v[98:101], v[96:97], off offset:672
	global_load_dwordx4 v[102:105], v[96:97], off offset:1456
	global_load_dwordx4 v[106:109], v[96:97], off offset:2240
	global_load_dwordx4 v[110:113], v[96:97], off offset:3024
	global_load_dwordx4 v[114:117], v[96:97], off offset:3808
	v_add_co_u32_e64 v96, s[0:1], s4, v96
	v_addc_co_u32_e64 v97, s[0:1], 0, v97, s[0:1]
	global_load_dwordx4 v[129:132], v[96:97], off offset:496
	ds_read_b128 v[133:136], v123 offset:672
	ds_read_b128 v[137:140], v123 offset:1456
	;; [unrolled: 1-line block ×6, first 2 shown]
	s_waitcnt vmcnt(5) lgkmcnt(5)
	v_mul_f64 v[96:97], v[135:136], v[100:101]
	v_mul_f64 v[100:101], v[133:134], v[100:101]
	s_waitcnt vmcnt(4) lgkmcnt(4)
	v_mul_f64 v[118:119], v[139:140], v[104:105]
	v_mul_f64 v[104:105], v[137:138], v[104:105]
	;; [unrolled: 3-line block ×6, first 2 shown]
	v_fma_f64 v[96:97], v[133:134], v[98:99], -v[96:97]
	v_fma_f64 v[98:99], v[135:136], v[98:99], v[100:101]
	v_fma_f64 v[100:101], v[137:138], v[102:103], -v[118:119]
	v_fma_f64 v[102:103], v[139:140], v[102:103], v[104:105]
	;; [unrolled: 2-line block ×6, first 2 shown]
	ds_write_b128 v123, v[96:99] offset:672
	ds_write_b128 v123, v[100:103] offset:1456
	;; [unrolled: 1-line block ×6, first 2 shown]
.LBB0_9:
	s_or_b64 exec, exec, s[2:3]
	s_waitcnt lgkmcnt(0)
	s_barrier
	ds_read_b128 v[108:111], v123
	ds_read_b128 v[100:103], v123 offset:784
	ds_read_b128 v[112:115], v123 offset:1568
	;; [unrolled: 1-line block ×5, first 2 shown]
	s_and_saveexec_b64 s[0:1], vcc
	s_cbranch_execz .LBB0_11
; %bb.10:
	v_lshl_add_u32 v56, v124, 4, v125
	ds_read_b128 v[92:95], v123 offset:672
	ds_read_b128 v[32:35], v56 offset:1456
	;; [unrolled: 1-line block ×6, first 2 shown]
.LBB0_11:
	s_or_b64 exec, exec, s[0:1]
	s_waitcnt lgkmcnt(1)
	v_add_f64 v[129:130], v[112:113], v[116:117]
	s_waitcnt lgkmcnt(0)
	v_add_f64 v[135:136], v[106:107], v[98:99]
	v_add_f64 v[131:132], v[108:109], v[112:113]
	v_add_f64 v[133:134], v[114:115], -v[118:119]
	v_add_f64 v[137:138], v[104:105], v[96:97]
	v_add_f64 v[139:140], v[104:105], -v[96:97]
	s_mov_b32 s0, 0xe8584caa
	s_mov_b32 s1, 0xbfebb67a
	v_fma_f64 v[108:109], v[129:130], -0.5, v[108:109]
	v_fma_f64 v[135:136], v[135:136], -0.5, v[102:103]
	s_mov_b32 s3, 0x3febb67a
	s_mov_b32 s2, s0
	v_add_f64 v[129:130], v[110:111], v[114:115]
	v_add_f64 v[114:115], v[114:115], v[118:119]
	v_fma_f64 v[137:138], v[137:138], -0.5, v[100:101]
	v_add_f64 v[143:144], v[106:107], -v[98:99]
	v_fma_f64 v[141:142], v[133:134], s[0:1], v[108:109]
	v_fma_f64 v[133:134], v[133:134], s[2:3], v[108:109]
	;; [unrolled: 1-line block ×4, first 2 shown]
	v_add_f64 v[131:132], v[131:132], v[116:117]
	v_add_f64 v[118:119], v[129:130], v[118:119]
	v_fma_f64 v[110:111], v[114:115], -0.5, v[110:111]
	v_add_f64 v[112:113], v[112:113], -v[116:117]
	v_add_f64 v[100:101], v[100:101], v[104:105]
	v_fma_f64 v[104:105], v[143:144], s[0:1], v[137:138]
	v_fma_f64 v[114:115], v[143:144], s[2:3], v[137:138]
	v_mul_f64 v[116:117], v[108:109], s[0:1]
	v_mul_f64 v[129:130], v[135:136], s[0:1]
	v_add_f64 v[102:103], v[102:103], v[106:107]
	v_mul_f64 v[106:107], v[108:109], 0.5
	v_mul_f64 v[108:109], v[135:136], -0.5
	v_fma_f64 v[135:136], v[112:113], s[2:3], v[110:111]
	v_fma_f64 v[137:138], v[112:113], s[0:1], v[110:111]
	v_add_f64 v[110:111], v[100:101], v[96:97]
	v_fma_f64 v[112:113], v[104:105], 0.5, v[116:117]
	v_fma_f64 v[116:117], v[114:115], -0.5, v[129:130]
	v_add_f64 v[129:130], v[102:103], v[98:99]
	v_fma_f64 v[139:140], v[104:105], s[2:3], v[106:107]
	v_fma_f64 v[143:144], v[114:115], s[2:3], v[108:109]
	s_barrier
	v_add_f64 v[96:97], v[131:132], v[110:111]
	v_add_f64 v[100:101], v[141:142], v[112:113]
	;; [unrolled: 1-line block ×6, first 2 shown]
	v_add_f64 v[108:109], v[131:132], -v[110:111]
	v_add_f64 v[110:111], v[118:119], -v[129:130]
	;; [unrolled: 1-line block ×6, first 2 shown]
	ds_write_b128 v128, v[96:99]
	ds_write_b128 v128, v[100:103] offset:16
	ds_write_b128 v128, v[104:107] offset:32
	;; [unrolled: 1-line block ×5, first 2 shown]
	s_and_saveexec_b64 s[4:5], vcc
	s_cbranch_execz .LBB0_13
; %bb.12:
	v_add_f64 v[96:97], v[50:51], v[58:59]
	v_add_f64 v[102:103], v[48:49], v[56:57]
	v_add_f64 v[104:105], v[48:49], -v[56:57]
	v_add_f64 v[98:99], v[38:39], v[54:55]
	v_add_f64 v[106:107], v[50:51], -v[58:59]
	;; [unrolled: 2-line block ×3, first 2 shown]
	v_add_f64 v[38:39], v[38:39], -v[54:55]
	v_fma_f64 v[96:97], v[96:97], -0.5, v[34:35]
	v_add_f64 v[34:35], v[34:35], v[50:51]
	v_add_f64 v[50:51], v[36:37], v[52:53]
	v_fma_f64 v[102:103], v[102:103], -0.5, v[32:33]
	v_add_f64 v[36:37], v[92:93], v[36:37]
	v_add_f64 v[32:33], v[32:33], v[48:49]
	v_fma_f64 v[48:49], v[98:99], -0.5, v[94:95]
	v_add_f64 v[94:95], v[108:109], v[54:55]
	v_fma_f64 v[110:111], v[104:105], s[0:1], v[96:97]
	v_fma_f64 v[96:97], v[104:105], s[2:3], v[96:97]
	v_add_f64 v[98:99], v[34:35], v[58:59]
	v_fma_f64 v[54:55], v[106:107], s[2:3], v[102:103]
	v_fma_f64 v[58:59], v[106:107], s[0:1], v[102:103]
	v_fma_f64 v[50:51], v[50:51], -0.5, v[92:93]
	v_add_f64 v[36:37], v[36:37], v[52:53]
	v_add_f64 v[32:33], v[32:33], v[56:57]
	v_mul_f64 v[34:35], v[110:111], -0.5
	v_mul_f64 v[102:103], v[96:97], 0.5
	v_mul_f64 v[92:93], v[96:97], s[0:1]
	v_mul_f64 v[96:97], v[110:111], s[0:1]
	v_fma_f64 v[52:53], v[100:101], s[0:1], v[48:49]
	v_fma_f64 v[48:49], v[100:101], s[2:3], v[48:49]
	;; [unrolled: 1-line block ×6, first 2 shown]
	v_fma_f64 v[108:109], v[58:59], 0.5, v[92:93]
	v_fma_f64 v[96:97], v[54:55], -0.5, v[96:97]
	v_add_f64 v[34:35], v[94:95], -v[98:99]
	v_add_f64 v[94:95], v[94:95], v[98:99]
	v_add_f64 v[92:93], v[36:37], v[32:33]
	v_add_f64 v[32:33], v[36:37], -v[32:33]
	v_add_f64 v[38:39], v[52:53], -v[100:101]
	v_add_f64 v[58:59], v[48:49], v[102:103]
	v_add_f64 v[56:57], v[106:107], v[108:109]
	;; [unrolled: 1-line block ×4, first 2 shown]
	v_add_f64 v[50:51], v[48:49], -v[102:103]
	v_add_f64 v[48:49], v[106:107], -v[108:109]
	;; [unrolled: 1-line block ×3, first 2 shown]
	v_lshl_add_u32 v96, v126, 4, v125
	ds_write_b128 v96, v[92:95]
	ds_write_b128 v96, v[56:59] offset:16
	ds_write_b128 v96, v[52:55] offset:32
	;; [unrolled: 1-line block ×5, first 2 shown]
.LBB0_13:
	s_or_b64 exec, exec, s[4:5]
	s_waitcnt lgkmcnt(0)
	s_barrier
	ds_read_b128 v[32:35], v123 offset:672
	ds_read_b128 v[36:39], v123 offset:1344
	;; [unrolled: 1-line block ×3, first 2 shown]
	ds_read_b128 v[52:55], v123
	ds_read_b128 v[56:59], v123 offset:2688
	ds_read_b128 v[92:95], v123 offset:3360
	;; [unrolled: 1-line block ×3, first 2 shown]
	s_mov_b32 s2, 0x37e14327
	s_waitcnt lgkmcnt(6)
	v_mul_f64 v[100:101], v[46:47], v[34:35]
	v_mul_f64 v[46:47], v[46:47], v[32:33]
	s_waitcnt lgkmcnt(5)
	v_mul_f64 v[102:103], v[42:43], v[38:39]
	v_mul_f64 v[42:43], v[42:43], v[36:37]
	s_mov_b32 s0, 0x36b3c0b5
	s_mov_b32 s12, 0xe976ee23
	;; [unrolled: 1-line block ×4, first 2 shown]
	v_fma_f64 v[32:33], v[44:45], v[32:33], v[100:101]
	v_fma_f64 v[34:35], v[44:45], v[34:35], -v[46:47]
	v_fma_f64 v[36:37], v[40:41], v[36:37], v[102:103]
	v_fma_f64 v[38:39], v[40:41], v[38:39], -v[42:43]
	s_waitcnt lgkmcnt(0)
	v_mul_f64 v[40:41], v[62:63], v[98:99]
	v_mul_f64 v[42:43], v[62:63], v[96:97]
	;; [unrolled: 1-line block ×8, first 2 shown]
	v_fma_f64 v[40:41], v[60:61], v[96:97], v[40:41]
	v_fma_f64 v[42:43], v[60:61], v[98:99], -v[42:43]
	v_fma_f64 v[44:45], v[28:29], v[48:49], v[44:45]
	v_fma_f64 v[28:29], v[28:29], v[50:51], -v[30:31]
	;; [unrolled: 2-line block ×4, first 2 shown]
	v_add_f64 v[26:27], v[32:33], v[40:41]
	v_add_f64 v[50:51], v[34:35], v[42:43]
	v_add_f64 v[32:33], v[32:33], -v[40:41]
	v_add_f64 v[34:35], v[34:35], -v[42:43]
	v_add_f64 v[40:41], v[36:37], v[30:31]
	v_add_f64 v[42:43], v[38:39], v[46:47]
	v_add_f64 v[30:31], v[36:37], -v[30:31]
	v_add_f64 v[36:37], v[38:39], -v[46:47]
	;; [unrolled: 4-line block ×4, first 2 shown]
	v_add_f64 v[60:61], v[26:27], -v[38:39]
	v_add_f64 v[50:51], v[50:51], -v[46:47]
	;; [unrolled: 1-line block ×4, first 2 shown]
	v_add_f64 v[26:27], v[44:45], v[30:31]
	v_add_f64 v[62:63], v[24:25], v[36:37]
	v_add_f64 v[64:65], v[44:45], -v[30:31]
	v_add_f64 v[66:67], v[24:25], -v[36:37]
	v_add_f64 v[28:29], v[38:39], v[28:29]
	v_add_f64 v[38:39], v[46:47], v[48:49]
	v_add_f64 v[30:31], v[30:31], -v[32:33]
	v_add_f64 v[36:37], v[36:37], -v[34:35]
	s_mov_b32 s13, 0x3fe11646
	s_mov_b32 s4, 0x429ad128
	v_add_f64 v[44:45], v[32:33], -v[44:45]
	v_add_f64 v[46:47], v[34:35], -v[24:25]
	v_add_f64 v[32:33], v[26:27], v[32:33]
	v_add_f64 v[34:35], v[62:63], v[34:35]
	;; [unrolled: 1-line block ×4, first 2 shown]
	v_mul_f64 v[48:49], v[60:61], s[2:3]
	v_mul_f64 v[50:51], v[50:51], s[2:3]
	;; [unrolled: 1-line block ×6, first 2 shown]
	s_mov_b32 s5, 0xbfebfeb5
	v_mul_f64 v[64:65], v[30:31], s[4:5]
	v_mul_f64 v[66:67], v[36:37], s[4:5]
	s_mov_b32 s14, 0xaaaaaaaa
	s_mov_b32 s16, 0x5476071b
	;; [unrolled: 1-line block ×8, first 2 shown]
	v_fma_f64 v[28:29], v[28:29], s[14:15], v[24:25]
	v_fma_f64 v[38:39], v[38:39], s[14:15], v[26:27]
	;; [unrolled: 1-line block ×4, first 2 shown]
	v_fma_f64 v[52:53], v[56:57], s[16:17], -v[52:53]
	v_fma_f64 v[54:55], v[58:59], s[16:17], -v[54:55]
	;; [unrolled: 1-line block ×4, first 2 shown]
	v_fma_f64 v[56:57], v[44:45], s[20:21], v[60:61]
	v_fma_f64 v[58:59], v[46:47], s[20:21], v[62:63]
	s_mov_b32 s25, 0x3fd5d0dc
	s_mov_b32 s24, s20
	v_fma_f64 v[44:45], v[44:45], s[24:25], -v[64:65]
	v_fma_f64 v[46:47], v[46:47], s[24:25], -v[66:67]
	;; [unrolled: 1-line block ×4, first 2 shown]
	s_mov_b32 s22, 0x37c3f68c
	s_mov_b32 s23, 0xbfdc38aa
	v_add_f64 v[60:61], v[40:41], v[28:29]
	v_add_f64 v[62:63], v[42:43], v[38:39]
	;; [unrolled: 1-line block ×4, first 2 shown]
	v_fma_f64 v[52:53], v[34:35], s[22:23], v[58:59]
	v_fma_f64 v[54:55], v[32:33], s[22:23], v[56:57]
	v_add_f64 v[48:49], v[48:49], v[28:29]
	v_add_f64 v[50:51], v[50:51], v[38:39]
	v_fma_f64 v[46:47], v[34:35], s[22:23], v[46:47]
	v_fma_f64 v[56:57], v[32:33], s[22:23], v[44:45]
	;; [unrolled: 1-line block ×4, first 2 shown]
	v_add_f64 v[28:29], v[52:53], v[60:61]
	v_add_f64 v[30:31], v[62:63], -v[54:55]
	s_barrier
	v_add_f64 v[32:33], v[46:47], v[48:49]
	v_add_f64 v[34:35], v[50:51], -v[56:57]
	v_add_f64 v[36:37], v[40:41], -v[44:45]
	v_add_f64 v[38:39], v[58:59], v[42:43]
	v_add_f64 v[40:41], v[44:45], v[40:41]
	v_add_f64 v[42:43], v[42:43], -v[58:59]
	v_add_f64 v[44:45], v[48:49], -v[46:47]
	v_add_f64 v[46:47], v[56:57], v[50:51]
	v_add_f64 v[48:49], v[60:61], -v[52:53]
	v_add_f64 v[50:51], v[54:55], v[62:63]
	ds_write_b128 v127, v[24:27]
	ds_write_b128 v127, v[28:31] offset:96
	ds_write_b128 v127, v[32:35] offset:192
	;; [unrolled: 1-line block ×6, first 2 shown]
	s_waitcnt lgkmcnt(0)
	s_barrier
	ds_read_b128 v[24:27], v123 offset:672
	ds_read_b128 v[28:31], v123 offset:1344
	;; [unrolled: 1-line block ×3, first 2 shown]
	ds_read_b128 v[36:39], v123
	ds_read_b128 v[40:43], v123 offset:2688
	ds_read_b128 v[44:47], v123 offset:3360
	;; [unrolled: 1-line block ×3, first 2 shown]
	s_waitcnt lgkmcnt(6)
	v_mul_f64 v[52:53], v[82:83], v[26:27]
	v_mul_f64 v[54:55], v[82:83], v[24:25]
	s_waitcnt lgkmcnt(5)
	v_mul_f64 v[56:57], v[78:79], v[30:31]
	v_mul_f64 v[58:59], v[78:79], v[28:29]
	;; [unrolled: 3-line block ×3, first 2 shown]
	v_mul_f64 v[64:65], v[70:71], v[42:43]
	v_mul_f64 v[66:67], v[70:71], v[40:41]
	v_fma_f64 v[24:25], v[80:81], v[24:25], v[52:53]
	v_fma_f64 v[26:27], v[80:81], v[26:27], -v[54:55]
	s_waitcnt lgkmcnt(0)
	v_mul_f64 v[52:53], v[86:87], v[50:51]
	v_mul_f64 v[54:55], v[86:87], v[48:49]
	v_fma_f64 v[28:29], v[76:77], v[28:29], v[56:57]
	v_fma_f64 v[30:31], v[76:77], v[30:31], -v[58:59]
	v_mul_f64 v[56:57], v[74:75], v[34:35]
	v_mul_f64 v[58:59], v[74:75], v[32:33]
	v_fma_f64 v[44:45], v[88:89], v[44:45], v[60:61]
	v_fma_f64 v[46:47], v[88:89], v[46:47], -v[62:63]
	v_fma_f64 v[48:49], v[84:85], v[48:49], v[52:53]
	v_fma_f64 v[50:51], v[84:85], v[50:51], -v[54:55]
	;; [unrolled: 2-line block ×4, first 2 shown]
	v_add_f64 v[52:53], v[24:25], v[48:49]
	v_add_f64 v[54:55], v[26:27], v[50:51]
	v_add_f64 v[24:25], v[24:25], -v[48:49]
	v_add_f64 v[26:27], v[26:27], -v[50:51]
	v_add_f64 v[48:49], v[28:29], v[44:45]
	v_add_f64 v[50:51], v[30:31], v[46:47]
	v_add_f64 v[28:29], v[28:29], -v[44:45]
	v_add_f64 v[30:31], v[30:31], -v[46:47]
	;; [unrolled: 4-line block ×4, first 2 shown]
	v_add_f64 v[52:53], v[52:53], -v[44:45]
	v_add_f64 v[54:55], v[54:55], -v[46:47]
	;; [unrolled: 1-line block ×4, first 2 shown]
	v_add_f64 v[60:61], v[32:33], v[28:29]
	v_add_f64 v[62:63], v[34:35], v[30:31]
	v_add_f64 v[64:65], v[32:33], -v[28:29]
	v_add_f64 v[66:67], v[34:35], -v[30:31]
	v_add_f64 v[40:41], v[44:45], v[40:41]
	v_add_f64 v[42:43], v[46:47], v[42:43]
	v_add_f64 v[28:29], v[28:29], -v[24:25]
	v_add_f64 v[30:31], v[30:31], -v[26:27]
	;; [unrolled: 1-line block ×4, first 2 shown]
	v_add_f64 v[44:45], v[60:61], v[24:25]
	v_add_f64 v[46:47], v[62:63], v[26:27]
	v_add_f64 v[24:25], v[36:37], v[40:41]
	v_add_f64 v[26:27], v[38:39], v[42:43]
	v_mul_f64 v[36:37], v[52:53], s[2:3]
	v_mul_f64 v[38:39], v[54:55], s[2:3]
	;; [unrolled: 1-line block ×8, first 2 shown]
	v_fma_f64 v[40:41], v[40:41], s[14:15], v[24:25]
	v_fma_f64 v[42:43], v[42:43], s[14:15], v[26:27]
	;; [unrolled: 1-line block ×4, first 2 shown]
	v_fma_f64 v[52:53], v[56:57], s[16:17], -v[52:53]
	v_fma_f64 v[54:55], v[58:59], s[16:17], -v[54:55]
	v_fma_f64 v[36:37], v[56:57], s[18:19], -v[36:37]
	v_fma_f64 v[38:39], v[58:59], s[18:19], -v[38:39]
	v_fma_f64 v[56:57], v[32:33], s[20:21], v[60:61]
	v_fma_f64 v[58:59], v[34:35], s[20:21], v[62:63]
	v_fma_f64 v[32:33], v[32:33], s[24:25], -v[64:65]
	v_fma_f64 v[34:35], v[34:35], s[24:25], -v[66:67]
	;; [unrolled: 1-line block ×4, first 2 shown]
	v_add_f64 v[48:49], v[48:49], v[40:41]
	v_add_f64 v[50:51], v[50:51], v[42:43]
	v_fma_f64 v[56:57], v[44:45], s[22:23], v[56:57]
	v_fma_f64 v[58:59], v[46:47], s[22:23], v[58:59]
	v_add_f64 v[60:61], v[36:37], v[40:41]
	v_add_f64 v[62:63], v[38:39], v[42:43]
	v_fma_f64 v[64:65], v[46:47], s[22:23], v[34:35]
	v_fma_f64 v[66:67], v[44:45], s[22:23], v[32:33]
	;; [unrolled: 4-line block ×3, first 2 shown]
	v_add_f64 v[28:29], v[58:59], v[48:49]
	v_add_f64 v[30:31], v[50:51], -v[56:57]
	v_add_f64 v[32:33], v[64:65], v[60:61]
	v_add_f64 v[34:35], v[62:63], -v[66:67]
	v_add_f64 v[44:45], v[60:61], -v[64:65]
	v_add_f64 v[46:47], v[66:67], v[62:63]
	v_add_f64 v[36:37], v[52:53], -v[40:41]
	v_add_f64 v[38:39], v[42:43], v[54:55]
	v_add_f64 v[40:41], v[40:41], v[52:53]
	v_add_f64 v[42:43], v[54:55], -v[42:43]
	v_add_f64 v[48:49], v[48:49], -v[58:59]
	v_add_f64 v[50:51], v[56:57], v[50:51]
	ds_write_b128 v123, v[24:27]
	ds_write_b128 v123, v[28:31] offset:672
	ds_write_b128 v123, v[32:35] offset:1344
	;; [unrolled: 1-line block ×6, first 2 shown]
	s_waitcnt lgkmcnt(0)
	s_barrier
	ds_read_b128 v[24:27], v123
	ds_read_b128 v[28:31], v123 offset:784
	v_mad_u64_u32 v[32:33], s[0:1], s10, v122, 0
	s_mov_b32 s2, 0x899406f7
	s_waitcnt lgkmcnt(1)
	v_mul_f64 v[34:35], v[22:23], v[26:27]
	v_mul_f64 v[22:23], v[22:23], v[24:25]
	s_mov_b32 s3, 0x3f6bdd2b
	v_mad_u64_u32 v[36:37], s[0:1], s11, v122, v[33:34]
	v_mad_u64_u32 v[37:38], s[0:1], s8, v124, 0
	v_fma_f64 v[24:25], v[20:21], v[24:25], v[34:35]
	v_fma_f64 v[22:23], v[20:21], v[26:27], -v[22:23]
	v_mov_b32_e32 v20, v38
	v_mad_u64_u32 v[26:27], s[0:1], s9, v124, v[20:21]
	v_mov_b32_e32 v33, v36
	v_mov_b32_e32 v38, v26
	s_waitcnt lgkmcnt(0)
	v_mul_f64 v[26:27], v[18:19], v[30:31]
	v_mul_f64 v[18:19], v[18:19], v[28:29]
	;; [unrolled: 1-line block ×4, first 2 shown]
	v_lshlrev_b64 v[24:25], 4, v[32:33]
	v_mov_b32_e32 v32, s7
	v_add_co_u32_e64 v33, s[0:1], s6, v24
	v_fma_f64 v[26:27], v[16:17], v[28:29], v[26:27]
	v_fma_f64 v[28:29], v[16:17], v[30:31], -v[18:19]
	ds_read_b128 v[16:19], v123 offset:1568
	v_addc_co_u32_e64 v32, s[0:1], v32, v25, s[0:1]
	v_lshlrev_b64 v[24:25], 4, v[37:38]
	v_add_co_u32_e64 v30, s[0:1], v33, v24
	v_addc_co_u32_e64 v31, s[0:1], v32, v25, s[0:1]
	global_store_dwordx4 v[30:31], v[20:23], off
	s_mul_i32 s0, s9, 49
	v_mul_f64 v[20:21], v[26:27], s[2:3]
	ds_read_b128 v[24:27], v123 offset:2352
	v_mul_f64 v[22:23], v[28:29], s[2:3]
	s_waitcnt lgkmcnt(1)
	v_mul_f64 v[28:29], v[14:15], v[18:19]
	v_mul_f64 v[14:15], v[14:15], v[16:17]
	s_mul_hi_u32 s1, s8, 49
	s_add_i32 s1, s1, s0
	s_mul_i32 s0, s8, 49
	s_lshl_b64 s[4:5], s[0:1], 4
	v_mov_b32_e32 v32, s5
	v_add_co_u32_e64 v30, s[0:1], s4, v30
	v_fma_f64 v[16:17], v[12:13], v[16:17], v[28:29]
	v_fma_f64 v[14:15], v[12:13], v[18:19], -v[14:15]
	s_waitcnt lgkmcnt(0)
	v_mul_f64 v[28:29], v[2:3], v[26:27]
	v_mul_f64 v[2:3], v[2:3], v[24:25]
	v_addc_co_u32_e64 v31, s[0:1], v31, v32, s[0:1]
	global_store_dwordx4 v[30:31], v[20:23], off
	ds_read_b128 v[20:23], v123 offset:3920
	v_mul_f64 v[12:13], v[16:17], s[2:3]
	ds_read_b128 v[16:19], v123 offset:3136
	v_mul_f64 v[14:15], v[14:15], s[2:3]
	v_fma_f64 v[2:3], v[0:1], v[26:27], -v[2:3]
	v_fma_f64 v[24:25], v[0:1], v[24:25], v[28:29]
	s_waitcnt lgkmcnt(1)
	v_mul_f64 v[28:29], v[10:11], v[22:23]
	s_waitcnt lgkmcnt(0)
	v_mul_f64 v[26:27], v[6:7], v[18:19]
	v_mul_f64 v[6:7], v[6:7], v[16:17]
	v_mul_f64 v[10:11], v[10:11], v[20:21]
	v_add_co_u32_e64 v30, s[0:1], s4, v30
	v_addc_co_u32_e64 v31, s[0:1], v31, v32, s[0:1]
	global_store_dwordx4 v[30:31], v[12:15], off
	v_mul_f64 v[0:1], v[24:25], s[2:3]
	v_fma_f64 v[12:13], v[4:5], v[16:17], v[26:27]
	v_fma_f64 v[6:7], v[4:5], v[18:19], -v[6:7]
	v_fma_f64 v[14:15], v[8:9], v[20:21], v[28:29]
	v_fma_f64 v[10:11], v[8:9], v[22:23], -v[10:11]
	v_mul_f64 v[2:3], v[2:3], s[2:3]
	v_add_co_u32_e64 v16, s[0:1], s4, v30
	v_addc_co_u32_e64 v17, s[0:1], v31, v32, s[0:1]
	v_mul_f64 v[4:5], v[12:13], s[2:3]
	v_mul_f64 v[6:7], v[6:7], s[2:3]
	;; [unrolled: 1-line block ×4, first 2 shown]
	global_store_dwordx4 v[16:17], v[0:3], off
	s_nop 0
	v_add_co_u32_e64 v0, s[0:1], s4, v16
	v_addc_co_u32_e64 v1, s[0:1], v17, v32, s[0:1]
	global_store_dwordx4 v[0:1], v[4:7], off
	v_add_co_u32_e64 v0, s[0:1], s4, v0
	v_addc_co_u32_e64 v1, s[0:1], v1, v32, s[0:1]
	global_store_dwordx4 v[0:1], v[8:11], off
	s_and_b64 exec, exec, vcc
	s_cbranch_execz .LBB0_15
; %bb.14:
	s_movk_i32 s0, 0x1000
	v_add_co_u32_e32 v22, vcc, s0, v120
	v_addc_co_u32_e32 v23, vcc, 0, v121, vcc
	global_load_dwordx4 v[2:5], v[120:121], off offset:672
	global_load_dwordx4 v[6:9], v[120:121], off offset:1456
	global_load_dwordx4 v[10:13], v[120:121], off offset:2240
	global_load_dwordx4 v[14:17], v[120:121], off offset:3024
	global_load_dwordx4 v[18:21], v[120:121], off offset:3808
	v_mov_b32_e32 v42, 0xfffff350
	global_load_dwordx4 v[22:25], v[22:23], off offset:496
	ds_read_b128 v[26:29], v123 offset:672
	ds_read_b128 v[30:33], v123 offset:1456
	;; [unrolled: 1-line block ×4, first 2 shown]
	v_mad_u64_u32 v[50:51], s[0:1], s8, v42, v[0:1]
	ds_read_b128 v[42:45], v123 offset:3808
	ds_read_b128 v[46:49], v123 offset:4592
	s_mul_i32 s6, s9, 0xfffff350
	s_sub_i32 s0, s6, s8
	v_mov_b32_e32 v68, s5
	v_add_u32_e32 v51, s0, v51
	v_add_co_u32_e32 v52, vcc, s4, v50
	v_addc_co_u32_e32 v53, vcc, v51, v68, vcc
	v_add_co_u32_e32 v54, vcc, s4, v52
	v_addc_co_u32_e32 v55, vcc, v53, v68, vcc
	;; [unrolled: 2-line block ×3, first 2 shown]
	s_waitcnt vmcnt(5) lgkmcnt(5)
	v_mul_f64 v[0:1], v[28:29], v[4:5]
	v_mul_f64 v[4:5], v[26:27], v[4:5]
	s_waitcnt vmcnt(4) lgkmcnt(4)
	v_mul_f64 v[58:59], v[32:33], v[8:9]
	v_mul_f64 v[8:9], v[30:31], v[8:9]
	;; [unrolled: 3-line block ×6, first 2 shown]
	v_fma_f64 v[0:1], v[26:27], v[2:3], v[0:1]
	v_fma_f64 v[2:3], v[2:3], v[28:29], -v[4:5]
	v_fma_f64 v[4:5], v[30:31], v[6:7], v[58:59]
	v_fma_f64 v[6:7], v[6:7], v[32:33], -v[8:9]
	;; [unrolled: 2-line block ×6, first 2 shown]
	v_mul_f64 v[0:1], v[0:1], s[2:3]
	v_mul_f64 v[2:3], v[2:3], s[2:3]
	;; [unrolled: 1-line block ×12, first 2 shown]
	v_add_co_u32_e32 v24, vcc, s4, v56
	v_addc_co_u32_e32 v25, vcc, v57, v68, vcc
	global_store_dwordx4 v[50:51], v[0:3], off
	global_store_dwordx4 v[52:53], v[4:7], off
	;; [unrolled: 1-line block ×5, first 2 shown]
	v_add_co_u32_e32 v0, vcc, s4, v24
	v_addc_co_u32_e32 v1, vcc, v25, v68, vcc
	global_store_dwordx4 v[0:1], v[20:23], off
.LBB0_15:
	s_endpgm
	.section	.rodata,"a",@progbits
	.p2align	6, 0x0
	.amdhsa_kernel bluestein_single_back_len294_dim1_dp_op_CI_CI
		.amdhsa_group_segment_fixed_size 14112
		.amdhsa_private_segment_fixed_size 0
		.amdhsa_kernarg_size 104
		.amdhsa_user_sgpr_count 6
		.amdhsa_user_sgpr_private_segment_buffer 1
		.amdhsa_user_sgpr_dispatch_ptr 0
		.amdhsa_user_sgpr_queue_ptr 0
		.amdhsa_user_sgpr_kernarg_segment_ptr 1
		.amdhsa_user_sgpr_dispatch_id 0
		.amdhsa_user_sgpr_flat_scratch_init 0
		.amdhsa_user_sgpr_private_segment_size 0
		.amdhsa_uses_dynamic_stack 0
		.amdhsa_system_sgpr_private_segment_wavefront_offset 0
		.amdhsa_system_sgpr_workgroup_id_x 1
		.amdhsa_system_sgpr_workgroup_id_y 0
		.amdhsa_system_sgpr_workgroup_id_z 0
		.amdhsa_system_sgpr_workgroup_info 0
		.amdhsa_system_vgpr_workitem_id 0
		.amdhsa_next_free_vgpr 171
		.amdhsa_next_free_sgpr 32
		.amdhsa_reserve_vcc 1
		.amdhsa_reserve_flat_scratch 0
		.amdhsa_float_round_mode_32 0
		.amdhsa_float_round_mode_16_64 0
		.amdhsa_float_denorm_mode_32 3
		.amdhsa_float_denorm_mode_16_64 3
		.amdhsa_dx10_clamp 1
		.amdhsa_ieee_mode 1
		.amdhsa_fp16_overflow 0
		.amdhsa_exception_fp_ieee_invalid_op 0
		.amdhsa_exception_fp_denorm_src 0
		.amdhsa_exception_fp_ieee_div_zero 0
		.amdhsa_exception_fp_ieee_overflow 0
		.amdhsa_exception_fp_ieee_underflow 0
		.amdhsa_exception_fp_ieee_inexact 0
		.amdhsa_exception_int_div_zero 0
	.end_amdhsa_kernel
	.text
.Lfunc_end0:
	.size	bluestein_single_back_len294_dim1_dp_op_CI_CI, .Lfunc_end0-bluestein_single_back_len294_dim1_dp_op_CI_CI
                                        ; -- End function
	.section	.AMDGPU.csdata,"",@progbits
; Kernel info:
; codeLenInByte = 9636
; NumSgprs: 36
; NumVgprs: 171
; ScratchSize: 0
; MemoryBound: 0
; FloatMode: 240
; IeeeMode: 1
; LDSByteSize: 14112 bytes/workgroup (compile time only)
; SGPRBlocks: 4
; VGPRBlocks: 42
; NumSGPRsForWavesPerEU: 36
; NumVGPRsForWavesPerEU: 171
; Occupancy: 1
; WaveLimiterHint : 1
; COMPUTE_PGM_RSRC2:SCRATCH_EN: 0
; COMPUTE_PGM_RSRC2:USER_SGPR: 6
; COMPUTE_PGM_RSRC2:TRAP_HANDLER: 0
; COMPUTE_PGM_RSRC2:TGID_X_EN: 1
; COMPUTE_PGM_RSRC2:TGID_Y_EN: 0
; COMPUTE_PGM_RSRC2:TGID_Z_EN: 0
; COMPUTE_PGM_RSRC2:TIDIG_COMP_CNT: 0
	.type	__hip_cuid_19b7b7785815c656,@object ; @__hip_cuid_19b7b7785815c656
	.section	.bss,"aw",@nobits
	.globl	__hip_cuid_19b7b7785815c656
__hip_cuid_19b7b7785815c656:
	.byte	0                               ; 0x0
	.size	__hip_cuid_19b7b7785815c656, 1

	.ident	"AMD clang version 19.0.0git (https://github.com/RadeonOpenCompute/llvm-project roc-6.4.0 25133 c7fe45cf4b819c5991fe208aaa96edf142730f1d)"
	.section	".note.GNU-stack","",@progbits
	.addrsig
	.addrsig_sym __hip_cuid_19b7b7785815c656
	.amdgpu_metadata
---
amdhsa.kernels:
  - .args:
      - .actual_access:  read_only
        .address_space:  global
        .offset:         0
        .size:           8
        .value_kind:     global_buffer
      - .actual_access:  read_only
        .address_space:  global
        .offset:         8
        .size:           8
        .value_kind:     global_buffer
      - .actual_access:  read_only
        .address_space:  global
        .offset:         16
        .size:           8
        .value_kind:     global_buffer
      - .actual_access:  read_only
        .address_space:  global
        .offset:         24
        .size:           8
        .value_kind:     global_buffer
      - .actual_access:  read_only
        .address_space:  global
        .offset:         32
        .size:           8
        .value_kind:     global_buffer
      - .offset:         40
        .size:           8
        .value_kind:     by_value
      - .address_space:  global
        .offset:         48
        .size:           8
        .value_kind:     global_buffer
      - .address_space:  global
        .offset:         56
        .size:           8
        .value_kind:     global_buffer
      - .address_space:  global
        .offset:         64
        .size:           8
        .value_kind:     global_buffer
      - .address_space:  global
        .offset:         72
        .size:           8
        .value_kind:     global_buffer
      - .offset:         80
        .size:           4
        .value_kind:     by_value
      - .address_space:  global
        .offset:         88
        .size:           8
        .value_kind:     global_buffer
      - .address_space:  global
        .offset:         96
        .size:           8
        .value_kind:     global_buffer
    .group_segment_fixed_size: 14112
    .kernarg_segment_align: 8
    .kernarg_segment_size: 104
    .language:       OpenCL C
    .language_version:
      - 2
      - 0
    .max_flat_workgroup_size: 126
    .name:           bluestein_single_back_len294_dim1_dp_op_CI_CI
    .private_segment_fixed_size: 0
    .sgpr_count:     36
    .sgpr_spill_count: 0
    .symbol:         bluestein_single_back_len294_dim1_dp_op_CI_CI.kd
    .uniform_work_group_size: 1
    .uses_dynamic_stack: false
    .vgpr_count:     171
    .vgpr_spill_count: 0
    .wavefront_size: 64
amdhsa.target:   amdgcn-amd-amdhsa--gfx906
amdhsa.version:
  - 1
  - 2
...

	.end_amdgpu_metadata
